;; amdgpu-corpus repo=ROCm/rocFFT kind=compiled arch=gfx950 opt=O3
	.text
	.amdgcn_target "amdgcn-amd-amdhsa--gfx950"
	.amdhsa_code_object_version 6
	.protected	fft_rtc_fwd_len169_factors_13_13_wgs_156_tpt_13_sp_op_CI_CI_sbrc_erc_z_xy_unaligned ; -- Begin function fft_rtc_fwd_len169_factors_13_13_wgs_156_tpt_13_sp_op_CI_CI_sbrc_erc_z_xy_unaligned
	.globl	fft_rtc_fwd_len169_factors_13_13_wgs_156_tpt_13_sp_op_CI_CI_sbrc_erc_z_xy_unaligned
	.p2align	8
	.type	fft_rtc_fwd_len169_factors_13_13_wgs_156_tpt_13_sp_op_CI_CI_sbrc_erc_z_xy_unaligned,@function
fft_rtc_fwd_len169_factors_13_13_wgs_156_tpt_13_sp_op_CI_CI_sbrc_erc_z_xy_unaligned: ; @fft_rtc_fwd_len169_factors_13_13_wgs_156_tpt_13_sp_op_CI_CI_sbrc_erc_z_xy_unaligned
; %bb.0:
	s_load_dwordx8 s[4:11], s[0:1], 0x0
	s_waitcnt lgkmcnt(0)
	s_load_dwordx4 s[12:15], s[8:9], 0x8
	s_waitcnt lgkmcnt(0)
	s_add_i32 s3, s12, -1
	s_mul_hi_u32 s3, s3, 0xaaaaaaab
	s_lshr_b32 s3, s3, 3
	s_add_i32 s8, s3, 1
	s_mul_i32 s9, s8, s14
	v_cvt_f32_u32_e32 v2, s9
	v_cvt_f32_u32_e32 v1, s8
	s_load_dwordx2 s[14:15], s[0:1], 0x20
	s_load_dwordx4 s[16:19], s[10:11], 0x0
	s_waitcnt lgkmcnt(0)
	s_sub_i32 s19, 0, s9
	v_rcp_iflag_f32_e32 v2, v2
	v_rcp_iflag_f32_e32 v1, v1
	s_load_dword s13, s[10:11], 0x10
	v_mul_f32_e32 v2, 0x4f7ffffe, v2
	v_cvt_u32_f32_e32 v2, v2
	v_mul_f32_e32 v1, 0x4f7ffffe, v1
	v_cvt_u32_f32_e32 v1, v1
	v_readfirstlane_b32 s21, v2
	s_mul_i32 s19, s19, s21
	s_mul_hi_u32 s19, s21, s19
	s_add_i32 s21, s21, s19
	s_mul_hi_u32 s19, s2, s21
	s_mul_i32 s21, s19, s9
	s_sub_i32 s21, s2, s21
	s_add_i32 s22, s19, 1
	s_sub_i32 s23, s21, s9
	s_cmp_ge_u32 s21, s9
	s_cselect_b32 s19, s22, s19
	s_cselect_b32 s21, s23, s21
	s_add_i32 s22, s19, 1
	s_cmp_ge_u32 s21, s9
	v_readfirstlane_b32 s20, v1
	s_cselect_b32 s33, s22, s19
	s_not_b32 s3, s3
	s_mul_i32 s3, s3, s20
	s_mul_i32 s9, s33, s9
	s_mul_hi_u32 s3, s20, s3
	s_sub_i32 s9, s2, s9
	s_add_i32 s20, s20, s3
	s_mul_hi_u32 s3, s9, s20
	s_mul_i32 s19, s3, s8
	s_sub_i32 s9, s9, s19
	s_add_i32 s21, s3, 1
	s_sub_i32 s19, s9, s8
	s_cmp_ge_u32 s9, s8
	s_cselect_b32 s3, s21, s3
	s_cselect_b32 s9, s19, s9
	s_add_i32 s19, s3, 1
	s_cmp_ge_u32 s9, s8
	s_cselect_b32 s66, s19, s3
	s_mul_hi_u32 s3, s2, s20
	s_mul_i32 s3, s3, s8
	s_sub_i32 s2, s2, s3
	s_sub_i32 s3, s2, s8
	s_cmp_ge_u32 s2, s8
	s_cselect_b32 s2, s3, s2
	s_sub_i32 s3, s2, s8
	s_cmp_ge_u32 s2, s8
	s_cselect_b32 s2, s3, s2
	s_waitcnt lgkmcnt(0)
	s_mul_i32 s3, s66, s13
	s_mul_i32 s13, s2, 12
	;; [unrolled: 1-line block ×3, first 2 shown]
	s_add_i32 s19, s2, s3
	s_lshl_b64 s[6:7], s[6:7], 3
	s_add_u32 s22, s10, s6
	s_addc_u32 s23, s11, s7
	s_load_dwordx2 s[24:25], s[22:23], 0x0
	s_load_dwordx2 s[20:21], s[0:1], 0x58
	s_load_dwordx4 s[8:11], s[14:15], 0x0
	s_load_dwordx2 s[2:3], s[14:15], 0x10
	s_waitcnt lgkmcnt(0)
	s_mul_i32 s3, s25, s33
	s_mul_hi_u32 s11, s24, s33
	s_add_i32 s11, s11, s3
	s_mul_i32 s3, s24, s33
	s_add_u32 s22, s3, s19
	s_addc_u32 s23, s11, 0
	s_add_u32 s6, s14, s6
	s_addc_u32 s7, s15, s7
	s_load_dwordx2 s[14:15], s[6:7], 0x0
	s_add_i32 s3, s13, 12
	s_cmp_le_u32 s3, s12
	s_cselect_b64 s[6:7], -1, 0
	s_mov_b64 s[24:25], -1
	s_and_b64 vcc, exec, s[6:7]
	s_cbranch_vccz .LBB0_2
; %bb.1:
	s_movk_i32 s3, 0x184
	v_mul_u32_u24_sdwa v1, v0, s3 dst_sel:DWORD dst_unused:UNUSED_PAD src0_sel:WORD_0 src1_sel:DWORD
	v_lshrrev_b32_e32 v1, 16, v1
	v_mul_lo_u16_e32 v2, 0xa9, v1
	v_sub_u16_e32 v36, v0, v2
	v_mad_u64_u32 v[4:5], s[24:25], s16, v36, 0
	v_mov_b32_e32 v2, v5
	v_mad_u64_u32 v[2:3], s[24:25], s17, v36, v[2:3]
	s_lshl_b64 s[24:25], s[22:23], 3
	s_add_u32 s24, s20, s24
	v_mov_b32_e32 v5, v2
	s_addc_u32 s25, s21, s25
	v_mul_lo_u32 v2, s18, v1
	v_mov_b32_e32 v3, 0
	v_lshl_add_u64 v[4:5], v[4:5], 3, s[24:25]
	v_lshl_add_u64 v[4:5], v[2:3], 3, v[4:5]
	v_add_u16_e32 v2, 0x9c, v0
	v_mul_u32_u24_e32 v6, 0x184, v2
	v_lshrrev_b32_e32 v37, 16, v6
	v_mul_lo_u16_e32 v6, 0xa9, v37
	v_sub_u16_e32 v38, v2, v6
	v_mad_u64_u32 v[6:7], s[26:27], s16, v38, 0
	v_mov_b32_e32 v2, v7
	v_mad_u64_u32 v[8:9], s[26:27], s17, v38, v[2:3]
	v_mov_b32_e32 v7, v8
	s_mov_b32 s11, 0x1d40138
	v_mul_lo_u32 v2, s18, v37
	v_lshl_add_u64 v[6:7], v[6:7], 3, s[24:25]
	v_pk_add_u16 v12, v0, s11 op_sel_hi:[0,1]
	v_lshl_add_u64 v[6:7], v[2:3], 3, v[6:7]
	v_and_b32_e32 v2, 0x3ff, v12
	v_mul_u32_u24_e32 v39, 0x184, v2
	v_lshrrev_b32_e32 v13, 16, v39
	v_mul_lo_u16_e32 v2, 0xa9, v13
	v_sub_u16_e32 v40, v12, v2
	v_mad_u64_u32 v[8:9], s[26:27], s16, v40, 0
	v_mov_b32_e32 v2, v9
	v_mad_u64_u32 v[10:11], s[26:27], s17, v40, v[2:3]
	v_mov_b32_e32 v9, v10
	v_mul_u32_u24_sdwa v41, v12, s3 dst_sel:DWORD dst_unused:UNUSED_PAD src0_sel:WORD_1 src1_sel:DWORD
	v_mul_lo_u32 v2, s18, v13
	v_lshl_add_u64 v[8:9], v[8:9], 3, s[24:25]
	v_lshrrev_b32_e32 v14, 16, v41
	v_lshl_add_u64 v[8:9], v[2:3], 3, v[8:9]
	v_mul_lo_u16_e32 v2, 0xa9, v14
	v_sub_u16_sdwa v42, v12, v2 dst_sel:DWORD dst_unused:UNUSED_PAD src0_sel:WORD_1 src1_sel:DWORD
	v_mad_u64_u32 v[10:11], s[26:27], s16, v42, 0
	v_mov_b32_e32 v2, v11
	v_mad_u64_u32 v[12:13], s[26:27], s17, v42, v[2:3]
	v_mov_b32_e32 v11, v12
	v_mul_lo_u32 v2, s18, v14
	v_lshl_add_u64 v[10:11], v[10:11], 3, s[24:25]
	s_mov_b32 s3, 0x30c0270
	v_lshl_add_u64 v[10:11], v[2:3], 3, v[10:11]
	global_load_dwordx2 v[12:13], v[4:5], off
	global_load_dwordx2 v[14:15], v[6:7], off
	global_load_dwordx2 v[16:17], v[8:9], off
	global_load_dwordx2 v[18:19], v[10:11], off
	v_pk_add_u16 v8, v0, s3 op_sel_hi:[0,1]
	v_and_b32_e32 v2, 0x3ff, v8
	v_mul_u32_u24_e32 v43, 0x184, v2
	v_lshrrev_b32_e32 v9, 16, v43
	v_mul_lo_u16_e32 v2, 0xa9, v9
	v_sub_u16_e32 v44, v8, v2
	v_mad_u64_u32 v[4:5], s[26:27], s16, v44, 0
	v_mov_b32_e32 v2, v5
	v_mad_u64_u32 v[6:7], s[26:27], s17, v44, v[2:3]
	s_movk_i32 s3, 0xc1f
	v_mov_b32_e32 v5, v6
	v_mul_u32_u24_sdwa v2, v8, s3 dst_sel:DWORD dst_unused:UNUSED_PAD src0_sel:WORD_1 src1_sel:DWORD
	v_lshrrev_b32_e32 v45, 19, v2
	v_mul_lo_u32 v2, s18, v9
	v_lshl_add_u64 v[4:5], v[4:5], 3, s[24:25]
	v_lshl_add_u64 v[4:5], v[2:3], 3, v[4:5]
	v_mul_lo_u16_e32 v2, 0xa9, v45
	v_sub_u16_sdwa v46, v8, v2 dst_sel:DWORD dst_unused:UNUSED_PAD src0_sel:WORD_1 src1_sel:DWORD
	v_mad_u64_u32 v[6:7], s[26:27], s16, v46, 0
	v_mov_b32_e32 v2, v7
	v_mad_u64_u32 v[8:9], s[26:27], s17, v46, v[2:3]
	v_mov_b32_e32 v7, v8
	v_mul_lo_u32 v2, s18, v45
	v_lshl_add_u64 v[6:7], v[6:7], 3, s[24:25]
	v_lshl_add_u64 v[6:7], v[2:3], 3, v[6:7]
	v_add_u16_e32 v2, 0x3a8, v0
	v_mul_u32_u24_e32 v8, 0xc1f, v2
	v_lshrrev_b32_e32 v47, 19, v8
	v_mul_lo_u16_e32 v8, 0xa9, v47
	v_sub_u16_e32 v48, v2, v8
	v_mad_u64_u32 v[8:9], s[26:27], s16, v48, 0
	v_mov_b32_e32 v2, v9
	v_mad_u64_u32 v[10:11], s[26:27], s17, v48, v[2:3]
	v_mov_b32_e32 v9, v10
	v_mul_lo_u32 v2, s18, v47
	v_lshl_add_u64 v[8:9], v[8:9], 3, s[24:25]
	v_lshl_add_u64 v[8:9], v[2:3], 3, v[8:9]
	v_add_u16_e32 v2, 0x444, v0
	v_mul_u32_u24_e32 v10, 0xc1f, v2
	v_lshrrev_b32_e32 v49, 19, v10
	v_mul_lo_u16_e32 v10, 0xa9, v49
	v_sub_u16_e32 v50, v2, v10
	v_mad_u64_u32 v[10:11], s[26:27], s16, v50, 0
	v_mov_b32_e32 v2, v11
	v_mad_u64_u32 v[20:21], s[26:27], s17, v50, v[2:3]
	v_mov_b32_e32 v11, v20
	v_mul_lo_u32 v2, s18, v49
	v_lshl_add_u64 v[10:11], v[10:11], 3, s[24:25]
	v_lshl_add_u64 v[10:11], v[2:3], 3, v[10:11]
	v_add_u16_e32 v2, 0x4e0, v0
	global_load_dwordx2 v[20:21], v[4:5], off
	global_load_dwordx2 v[22:23], v[6:7], off
	;; [unrolled: 1-line block ×4, first 2 shown]
	v_mul_u32_u24_e32 v4, 0xc1f, v2
	v_lshrrev_b32_e32 v51, 19, v4
	v_mul_lo_u16_e32 v4, 0xa9, v51
	v_sub_u16_e32 v52, v2, v4
	v_mad_u64_u32 v[4:5], s[26:27], s16, v52, 0
	v_mov_b32_e32 v2, v5
	v_mad_u64_u32 v[6:7], s[26:27], s17, v52, v[2:3]
	v_mov_b32_e32 v5, v6
	v_mul_lo_u32 v2, s18, v51
	v_lshl_add_u64 v[4:5], v[4:5], 3, s[24:25]
	v_lshl_add_u64 v[4:5], v[2:3], 3, v[4:5]
	v_add_u16_e32 v2, 0x57c, v0
	v_mul_u32_u24_e32 v6, 0xc1f, v2
	v_lshrrev_b32_e32 v53, 19, v6
	v_mul_lo_u16_e32 v6, 0xa9, v53
	v_sub_u16_e32 v54, v2, v6
	v_mad_u64_u32 v[6:7], s[26:27], s16, v54, 0
	v_mov_b32_e32 v2, v7
	v_mad_u64_u32 v[8:9], s[26:27], s17, v54, v[2:3]
	v_mov_b32_e32 v7, v8
	v_mul_lo_u32 v2, s18, v53
	v_lshl_add_u64 v[6:7], v[6:7], 3, s[24:25]
	v_lshl_add_u64 v[6:7], v[2:3], 3, v[6:7]
	v_add_u16_e32 v2, 0x618, v0
	;; [unrolled: 12-line block ×4, first 2 shown]
	global_load_dwordx2 v[28:29], v[4:5], off
	global_load_dwordx2 v[30:31], v[6:7], off
	;; [unrolled: 1-line block ×4, first 2 shown]
	v_mul_u32_u24_e32 v4, 0xc1f, v2
	v_lshrrev_b32_e32 v8, 19, v4
	v_mul_lo_u16_e32 v4, 0xa9, v8
	v_sub_u16_e32 v9, v2, v4
	v_mad_u64_u32 v[4:5], s[26:27], s16, v9, 0
	v_mov_b32_e32 v2, v5
	v_mad_u64_u32 v[6:7], s[26:27], s17, v9, v[2:3]
	v_mov_b32_e32 v5, v6
	v_mul_lo_u32 v2, s18, v8
	v_lshl_add_u64 v[4:5], v[4:5], 3, s[24:25]
	v_lshl_add_u64 v[2:3], v[2:3], 3, v[4:5]
	global_load_dwordx2 v[2:3], v[2:3], off
	v_mul_u32_u24_e32 v1, 0x550, v1
	v_lshlrev_b32_e32 v4, 3, v36
	v_add3_u32 v1, 0, v1, v4
	s_waitcnt vmcnt(12)
	ds_write_b64 v1, v[12:13]
	v_mul_u32_u24_e32 v1, 0x550, v37
	v_lshlrev_b32_e32 v4, 3, v38
	v_add3_u32 v1, 0, v1, v4
	s_mov_b32 s11, 0x7060302
	s_movk_i32 s3, 0x550
	s_waitcnt vmcnt(11)
	ds_write_b64 v1, v[14:15]
	v_perm_b32 v1, v41, v39, s11
	v_pk_mul_lo_u16 v1, v1, s3 op_sel_hi:[1,0]
	v_lshlrev_b32_e32 v5, 3, v40
	v_and_b32_e32 v4, 0xfff0, v1
	v_add3_u32 v4, 0, v4, v5
	s_waitcnt vmcnt(10)
	ds_write_b64 v4, v[16:17]
	v_lshrrev_b32_e32 v1, 16, v1
	v_lshlrev_b32_e32 v4, 3, v42
	v_add3_u32 v1, 0, v1, v4
	s_waitcnt vmcnt(9)
	ds_write_b64 v1, v[18:19]
	v_alignbit_b32 v1, v45, v43, 16
	v_pk_mul_lo_u16 v1, v1, s3 op_sel_hi:[1,0]
	v_lshlrev_b32_e32 v5, 3, v44
	v_and_b32_e32 v4, 0xfff0, v1
	v_add3_u32 v4, 0, v4, v5
	s_waitcnt vmcnt(8)
	ds_write_b64 v4, v[20:21]
	v_lshrrev_b32_e32 v1, 16, v1
	v_lshlrev_b32_e32 v4, 3, v46
	v_add3_u32 v1, 0, v1, v4
	s_waitcnt vmcnt(7)
	ds_write_b64 v1, v[22:23]
	v_mul_u32_u24_e32 v1, 0x550, v47
	v_lshlrev_b32_e32 v4, 3, v48
	v_add3_u32 v1, 0, v1, v4
	s_waitcnt vmcnt(6)
	ds_write_b64 v1, v[24:25]
	v_mul_u32_u24_e32 v1, 0x550, v49
	;; [unrolled: 5-line block ×3, first 2 shown]
	v_lshlrev_b32_e32 v4, 3, v52
	v_add3_u32 v1, 0, v1, v4
	v_lshlrev_b32_e32 v4, 3, v54
	s_mov_b64 s[24:25], 0
	s_waitcnt vmcnt(4)
	ds_write_b64 v1, v[28:29]
	v_mul_u32_u24_e32 v1, 0x550, v53
	v_add3_u32 v1, 0, v1, v4
	s_waitcnt vmcnt(3)
	ds_write_b64 v1, v[30:31]
	v_mul_u32_u24_e32 v1, 0x550, v55
	v_lshlrev_b32_e32 v4, 3, v56
	v_add3_u32 v1, 0, v1, v4
	s_waitcnt vmcnt(2)
	ds_write_b64 v1, v[32:33]
	v_mul_u32_u24_e32 v1, 0x550, v57
	v_lshlrev_b32_e32 v4, 3, v58
	;; [unrolled: 5-line block ×3, first 2 shown]
	v_add3_u32 v1, 0, v1, v4
	s_waitcnt vmcnt(0)
	ds_write_b64 v1, v[2:3]
.LBB0_2:
	s_load_dwordx2 s[0:1], s[0:1], 0x60
	s_andn2_b64 vcc, exec, s[24:25]
	s_cbranch_vccnz .LBB0_6
; %bb.3:
	s_lshl_b64 s[22:23], s[22:23], 3
	s_add_u32 s20, s20, s22
	s_addc_u32 s21, s21, s23
	s_mov_b64 s[22:23], 0
	s_mov_b32 s3, 0xc1e5
	v_mov_b32_e32 v3, 0
	s_movk_i32 s11, 0x7eb
	v_mov_b32_e32 v1, v0
.LBB0_4:                                ; =>This Inner Loop Header: Depth=1
	v_mul_u32_u24_sdwa v2, v1, s3 dst_sel:DWORD dst_unused:UNUSED_PAD src0_sel:WORD_0 src1_sel:DWORD
	v_lshrrev_b32_e32 v8, 23, v2
	v_mul_lo_u16_e32 v4, 0xa9, v8
	v_sub_u16_e32 v9, v1, v4
	v_mad_u64_u32 v[4:5], s[24:25], s16, v9, 0
	v_mov_b32_e32 v6, v5
	v_mad_u64_u32 v[6:7], s[24:25], s17, v9, v[6:7]
	v_mov_b32_e32 v5, v6
	v_mul_lo_u32 v2, v8, s18
	v_lshl_add_u64 v[4:5], v[4:5], 3, s[20:21]
	v_lshl_add_u64 v[4:5], v[2:3], 3, v[4:5]
	global_load_dwordx2 v[4:5], v[4:5], off
	v_add_u32_e32 v1, 0x9c, v1
	v_mul_u32_u24_e32 v2, 0x550, v8
	v_lshlrev_b32_e32 v6, 3, v9
	v_cmp_lt_u32_e32 vcc, s11, v1
	v_add3_u32 v2, 0, v2, v6
	s_or_b64 s[22:23], vcc, s[22:23]
	s_waitcnt vmcnt(0)
	ds_write_b64 v2, v[4:5]
	s_andn2_b64 exec, exec, s[22:23]
	s_cbranch_execnz .LBB0_4
; %bb.5:
	s_or_b64 exec, exec, s[22:23]
.LBB0_6:
	s_movk_i32 s3, 0x13b2
	v_mul_u32_u24_sdwa v1, v0, s3 dst_sel:DWORD dst_unused:UNUSED_PAD src0_sel:WORD_0 src1_sel:DWORD
	v_add_u32_sdwa v1, s13, v1 dst_sel:DWORD dst_unused:UNUSED_PAD src0_sel:DWORD src1_sel:WORD_1
	s_mov_b32 s3, 0xaaaaaaab
	v_mul_hi_u32 v2, v1, s3
	v_lshrrev_b32_e32 v2, 3, v2
	v_mul_lo_u32 v2, v2, 12
	s_mov_b32 s3, 0x13b13b14
	v_sub_u32_e32 v1, v1, v2
	v_mul_hi_u32 v2, v0, s3
	v_mul_u32_u24_e32 v2, 13, v2
	v_mul_u32_u24_e32 v1, 0xaa, v1
	v_sub_u32_e32 v103, v0, v2
	v_lshlrev_b32_e32 v1, 3, v1
	v_lshlrev_b32_e32 v2, 3, v103
	v_add3_u32 v102, 0, v1, v2
	v_add3_u32 v1, 0, v2, v1
	s_waitcnt lgkmcnt(0)
	s_barrier
	ds_read2_b64 v[4:7], v1 offset0:13 offset1:26
	ds_read2_b64 v[8:11], v1 offset0:143 offset1:156
	;; [unrolled: 1-line block ×6, first 2 shown]
	ds_read_b64 v[2:3], v102
	s_mov_b32 s16, 0xbeedf032
	s_mov_b32 s17, 0x3f62ad3f
	s_waitcnt lgkmcnt(5)
	v_pk_add_f32 v[62:63], v[10:11], v[4:5]
	v_pk_add_f32 v[38:39], v[4:5], v[10:11] neg_lo:[0,1] neg_hi:[0,1]
	s_waitcnt lgkmcnt(0)
	v_pk_add_f32 v[4:5], v[2:3], v[4:5]
	s_mov_b32 s58, s17
	v_pk_add_f32 v[4:5], v[4:5], v[6:7]
	s_mov_b32 s59, s16
	v_pk_add_f32 v[4:5], v[4:5], v[12:13]
	v_pk_add_f32 v[56:57], v[8:9], v[6:7]
	v_pk_add_f32 v[4:5], v[4:5], v[14:15]
	v_pk_add_f32 v[28:29], v[6:7], v[8:9] neg_lo:[0,1] neg_hi:[0,1]
	v_pk_add_f32 v[4:5], v[4:5], v[20:21]
	s_mov_b32 s18, 0xbf52af12
	v_pk_add_f32 v[4:5], v[4:5], v[22:23]
	s_mov_b32 s19, 0x3f116cb1
	v_pk_add_f32 v[4:5], v[4:5], v[24:25]
	v_pk_add_f32 v[48:49], v[16:17], v[14:15]
	;; [unrolled: 1-line block ×3, first 2 shown]
	v_pk_add_f32 v[32:33], v[14:15], v[16:17] neg_lo:[0,1] neg_hi:[0,1]
	v_pk_add_f32 v[4:5], v[4:5], v[16:17]
	s_mov_b32 s40, s19
	v_pk_add_f32 v[4:5], v[4:5], v[18:19]
	s_mov_b32 s41, s18
	v_pk_add_f32 v[4:5], v[4:5], v[8:9]
	v_pk_add_f32 v[50:51], v[18:19], v[12:13]
	;; [unrolled: 1-line block ×3, first 2 shown]
	v_mov_b32_e32 v5, v63
	v_mov_b32_e32 v63, v38
	;; [unrolled: 1-line block ×3, first 2 shown]
	v_pk_mul_f32 v[8:9], v[62:63], s[58:59]
	v_pk_add_f32 v[30:31], v[12:13], v[18:19] neg_lo:[0,1] neg_hi:[0,1]
	v_pk_fma_f32 v[10:11], v[4:5], s[16:17], v[8:9] neg_lo:[1,0,0] neg_hi:[1,0,0]
	v_pk_fma_f32 v[6:7], v[4:5], s[16:17], v[8:9]
	s_mov_b32 s20, 0xbf7e222b
	v_mov_b32_e32 v11, v7
	v_pk_add_f32 v[16:17], v[2:3], v[10:11]
	v_mov_b32_e32 v11, v57
	v_mov_b32_e32 v57, v28
	;; [unrolled: 1-line block ×3, first 2 shown]
	v_pk_mul_f32 v[14:15], v[56:57], s[40:41]
	s_mov_b32 s21, 0x3df6dbef
	v_pk_fma_f32 v[18:19], v[10:11], s[18:19], v[14:15] neg_lo:[1,0,0] neg_hi:[1,0,0]
	v_pk_fma_f32 v[12:13], v[10:11], s[18:19], v[14:15]
	v_pk_add_f32 v[44:45], v[24:25], v[22:23]
	v_mov_b32_e32 v19, v13
	v_pk_add_f32 v[36:37], v[22:23], v[24:25] neg_lo:[0,1] neg_hi:[0,1]
	v_pk_add_f32 v[22:23], v[18:19], v[16:17]
	v_mov_b32_e32 v17, v51
	v_mov_b32_e32 v51, v30
	s_mov_b32 s46, s21
	s_mov_b32 s47, s20
	v_pk_add_f32 v[46:47], v[26:27], v[20:21]
	v_pk_add_f32 v[34:35], v[20:21], v[26:27] neg_lo:[0,1] neg_hi:[0,1]
	v_mov_b32_e32 v16, v31
	v_pk_mul_f32 v[20:21], v[50:51], s[46:47]
	s_mov_b32 s22, 0xbf6f5d39
	v_pk_fma_f32 v[24:25], v[16:17], s[20:21], v[20:21] neg_lo:[1,0,0] neg_hi:[1,0,0]
	v_pk_fma_f32 v[18:19], v[16:17], s[20:21], v[20:21]
	s_mov_b32 s23, 0xbeb58ec6
	v_mov_b32_e32 v25, v19
	v_pk_add_f32 v[28:29], v[24:25], v[22:23]
	v_mov_b32_e32 v23, v49
	v_mov_b32_e32 v49, v32
	s_mov_b32 s36, s23
	s_mov_b32 s37, s22
	v_mov_b32_e32 v22, v33
	v_pk_mul_f32 v[26:27], v[48:49], s[36:37]
	s_mov_b32 s24, 0xbf29c268
	v_pk_fma_f32 v[30:31], v[22:23], s[22:23], v[26:27] neg_lo:[1,0,0] neg_hi:[1,0,0]
	v_pk_fma_f32 v[24:25], v[22:23], s[22:23], v[26:27]
	s_mov_b32 s25, 0xbf3f9e67
	v_mov_b32_e32 v31, v25
	v_pk_add_f32 v[38:39], v[30:31], v[28:29]
	v_mov_b32_e32 v29, v47
	v_mov_b32_e32 v47, v34
	s_mov_b32 s38, s25
	s_mov_b32 s39, s24
	;; [unrolled: 12-line block ×3, first 2 shown]
	v_mov_b32_e32 v34, v37
	v_pk_mul_f32 v[38:39], v[44:45], s[42:43]
	s_movk_i32 s3, 0x60
	v_pk_fma_f32 v[52:53], v[34:35], s[26:27], v[38:39] neg_lo:[1,0,0] neg_hi:[1,0,0]
	v_pk_fma_f32 v[36:37], v[34:35], s[26:27], v[38:39]
	v_mad_u32_u24 v104, v103, s3, v1
	v_mov_b32_e32 v53, v37
	v_pk_add_f32 v[42:43], v[52:53], v[42:43]
	v_pk_mul_f32 v[52:53], v[62:63], s[40:41]
	s_barrier
	ds_write2_b64 v104, v[40:41], v[42:43] offset1:1
	v_pk_fma_f32 v[58:59], v[4:5], s[18:19], v[52:53] neg_lo:[1,0,0] neg_hi:[1,0,0]
	v_pk_fma_f32 v[40:41], v[4:5], s[18:19], v[52:53]
	v_pk_mul_f32 v[54:55], v[56:57], s[36:37]
	v_mov_b32_e32 v59, v41
	v_pk_fma_f32 v[60:61], v[10:11], s[22:23], v[54:55] neg_lo:[1,0,0] neg_hi:[1,0,0]
	v_pk_fma_f32 v[42:43], v[10:11], s[22:23], v[54:55]
	v_pk_add_f32 v[58:59], v[2:3], v[58:59]
	v_mov_b32_e32 v61, v43
	v_pk_mul_f32 v[64:65], v[50:51], s[42:43]
	s_mov_b32 s28, 0x3f29c268
	v_pk_add_f32 v[60:61], v[60:61], v[58:59]
	v_pk_fma_f32 v[66:67], v[16:17], s[26:27], v[64:65] neg_lo:[1,0,0] neg_hi:[1,0,0]
	v_pk_fma_f32 v[58:59], v[16:17], s[26:27], v[64:65]
	s_mov_b32 s56, s25
	s_mov_b32 s57, s28
	v_mov_b32_e32 v67, v59
	s_mov_b32 s29, s25
	v_pk_mul_f32 v[68:69], v[48:49], s[56:57]
	v_pk_add_f32 v[66:67], v[66:67], v[60:61]
	v_pk_fma_f32 v[70:71], v[22:23], s[28:29], v[68:69] neg_lo:[1,0,0] neg_hi:[1,0,0]
	v_pk_fma_f32 v[60:61], v[22:23], s[28:29], v[68:69]
	s_mov_b32 s30, 0x3f7e222b
	v_mov_b32_e32 v71, v61
	s_mov_b32 s48, s21
	s_mov_b32 s49, s30
	v_pk_add_f32 v[72:73], v[70:71], v[66:67]
	s_mov_b32 s31, s21
	v_pk_mul_f32 v[70:71], v[46:47], s[48:49]
	s_mov_b32 s34, 0x3eedf032
	v_pk_fma_f32 v[74:75], v[28:29], s[30:31], v[70:71] neg_lo:[1,0,0] neg_hi:[1,0,0]
	v_pk_fma_f32 v[66:67], v[28:29], s[30:31], v[70:71]
	s_mov_b32 s50, s17
	v_mov_b32_e32 v75, v67
	s_mov_b32 s51, s34
	v_pk_add_f32 v[76:77], v[74:75], v[72:73]
	s_mov_b32 s35, s17
	v_pk_mul_f32 v[74:75], v[44:45], s[50:51]
	v_pk_mul_f32 v[80:81], v[62:63], s[46:47]
	v_pk_fma_f32 v[78:79], v[34:35], s[34:35], v[74:75] neg_lo:[1,0,0] neg_hi:[1,0,0]
	v_pk_fma_f32 v[72:73], v[34:35], s[34:35], v[74:75]
	v_pk_fma_f32 v[84:85], v[4:5], s[20:21], v[80:81] neg_lo:[1,0,0] neg_hi:[1,0,0]
	v_mov_b32_e32 v79, v73
	v_pk_add_f32 v[100:101], v[78:79], v[76:77]
	v_pk_fma_f32 v[76:77], v[4:5], s[20:21], v[80:81]
	v_pk_mul_f32 v[82:83], v[56:57], s[42:43]
	s_mov_b32 s44, 0x3f6f5d39
	v_mov_b32_e32 v85, v77
	v_pk_fma_f32 v[86:87], v[10:11], s[26:27], v[82:83] neg_lo:[1,0,0] neg_hi:[1,0,0]
	v_pk_fma_f32 v[78:79], v[10:11], s[26:27], v[82:83]
	s_mov_b32 s64, s23
	s_mov_b32 s65, s44
	v_mov_b32_e32 v87, v79
	v_pk_add_f32 v[84:85], v[2:3], v[84:85]
	s_mov_b32 s45, s23
	v_pk_mul_f32 v[90:91], v[50:51], s[64:65]
	v_pk_add_f32 v[86:87], v[86:87], v[84:85]
	v_pk_fma_f32 v[88:89], v[16:17], s[44:45], v[90:91] neg_lo:[1,0,0] neg_hi:[1,0,0]
	v_pk_fma_f32 v[84:85], v[16:17], s[44:45], v[90:91]
	v_pk_mul_f32 v[94:95], v[48:49], s[50:51]
	v_mov_b32_e32 v89, v85
	v_pk_add_f32 v[88:89], v[88:89], v[86:87]
	v_pk_fma_f32 v[92:93], v[22:23], s[34:35], v[94:95] neg_lo:[1,0,0] neg_hi:[1,0,0]
	v_pk_fma_f32 v[86:87], v[22:23], s[34:35], v[94:95]
	v_pk_mul_f32 v[96:97], v[46:47], s[40:41]
	v_mov_b32_e32 v93, v87
	;; [unrolled: 5-line block ×3, first 2 shown]
	v_pk_add_f32 v[106:107], v[98:99], v[92:93]
	v_pk_mul_f32 v[98:99], v[44:45], s[38:39]
	v_pk_fma_f32 v[112:113], v[10:11], s[28:29], v[110:111] neg_lo:[1,0,0] neg_hi:[1,0,0]
	v_pk_fma_f32 v[108:109], v[34:35], s[24:25], v[98:99] neg_lo:[1,0,0] neg_hi:[1,0,0]
	v_pk_fma_f32 v[92:93], v[34:35], s[24:25], v[98:99]
	v_pk_fma_f32 v[114:115], v[10:11], s[28:29], v[110:111]
	v_mov_b32_e32 v109, v93
	v_pk_add_f32 v[106:107], v[108:109], v[106:107]
	ds_write2_b64 v104, v[100:101], v[106:107] offset0:2 offset1:3
	v_pk_mul_f32 v[106:107], v[62:63], s[36:37]
	v_mov_b32_e32 v113, v115
	v_pk_fma_f32 v[108:109], v[4:5], s[22:23], v[106:107] neg_lo:[1,0,0] neg_hi:[1,0,0]
	v_pk_fma_f32 v[100:101], v[4:5], s[22:23], v[106:107]
	s_mov_b32 s52, 0x3e750f2a
	v_mov_b32_e32 v109, v101
	v_pk_add_f32 v[108:109], v[2:3], v[108:109]
	s_mov_b32 s62, s27
	v_pk_add_f32 v[108:109], v[112:113], v[108:109]
	v_pk_mul_f32 v[112:113], v[50:51], s[50:51]
	s_mov_b32 s63, s52
	v_pk_fma_f32 v[116:117], v[16:17], s[34:35], v[112:113] neg_lo:[1,0,0] neg_hi:[1,0,0]
	v_pk_fma_f32 v[118:119], v[16:17], s[34:35], v[112:113]
	s_mov_b32 s53, s27
	v_mov_b32_e32 v117, v119
	v_pk_add_f32 v[108:109], v[116:117], v[108:109]
	v_pk_mul_f32 v[116:117], v[48:49], s[46:47]
	s_mov_b32 s54, 0x3f52af12
	v_pk_fma_f32 v[120:121], v[22:23], s[20:21], v[116:117] neg_lo:[1,0,0] neg_hi:[1,0,0]
	v_pk_fma_f32 v[122:123], v[22:23], s[20:21], v[116:117]
	s_mov_b32 s60, s19
	v_mov_b32_e32 v121, v123
	;; [unrolled: 7-line block ×3, first 2 shown]
	v_pk_add_f32 v[108:109], v[124:125], v[108:109]
	v_pk_mul_f32 v[124:125], v[44:45], s[60:61]
	v_pk_mul_f32 v[136:137], v[56:57], s[48:49]
	v_pk_fma_f32 v[128:129], v[34:35], s[54:55], v[124:125] neg_lo:[1,0,0] neg_hi:[1,0,0]
	v_pk_fma_f32 v[130:131], v[34:35], s[54:55], v[124:125]
	v_pk_fma_f32 v[138:139], v[10:11], s[30:31], v[136:137] neg_lo:[1,0,0] neg_hi:[1,0,0]
	v_mov_b32_e32 v129, v131
	v_pk_add_f32 v[108:109], v[128:129], v[108:109]
	v_pk_mul_f32 v[128:129], v[62:63], s[38:39]
	v_pk_fma_f32 v[140:141], v[10:11], s[30:31], v[136:137]
	v_pk_fma_f32 v[132:133], v[4:5], s[24:25], v[128:129] neg_lo:[1,0,0] neg_hi:[1,0,0]
	v_pk_fma_f32 v[134:135], v[4:5], s[24:25], v[128:129]
	v_mov_b32_e32 v139, v141
	v_mov_b32_e32 v133, v135
	v_pk_add_f32 v[132:133], v[2:3], v[132:133]
	v_pk_mul_f32 v[62:63], v[62:63], s[42:43]
	v_pk_add_f32 v[132:133], v[138:139], v[132:133]
	v_pk_mul_f32 v[138:139], v[50:51], s[40:41]
	v_pk_mul_f32 v[56:57], v[56:57], s[50:51]
	v_pk_fma_f32 v[142:143], v[16:17], s[18:19], v[138:139] neg_lo:[1,0,0] neg_hi:[1,0,0]
	v_pk_fma_f32 v[144:145], v[16:17], s[18:19], v[138:139]
	v_pk_fma_f32 v[158:159], v[10:11], s[34:35], v[56:57]
	v_mov_b32_e32 v143, v145
	v_pk_add_f32 v[132:133], v[142:143], v[132:133]
	v_pk_mul_f32 v[142:143], v[48:49], s[62:63]
	v_pk_mul_f32 v[50:51], v[50:51], s[38:39]
	v_pk_fma_f32 v[146:147], v[22:23], s[52:53], v[142:143] neg_lo:[1,0,0] neg_hi:[1,0,0]
	v_pk_fma_f32 v[148:149], v[22:23], s[52:53], v[142:143]
	v_pk_fma_f32 v[160:161], v[16:17], s[24:25], v[50:51]
	v_mov_b32_e32 v147, v149
	;; [unrolled: 7-line block ×4, first 2 shown]
	v_pk_add_f32 v[132:133], v[154:155], v[132:133]
	ds_write2_b64 v104, v[108:109], v[132:133] offset0:4 offset1:5
	v_pk_fma_f32 v[108:109], v[4:5], s[26:27], v[62:63] neg_lo:[1,0,0] neg_hi:[1,0,0]
	v_pk_fma_f32 v[132:133], v[4:5], s[26:27], v[62:63]
	v_pk_fma_f32 v[154:155], v[10:11], s[34:35], v[56:57] neg_lo:[1,0,0] neg_hi:[1,0,0]
	v_mov_b32_e32 v109, v133
	v_mov_b32_e32 v155, v159
	v_pk_add_f32 v[108:109], v[2:3], v[108:109]
	v_pk_mul_f32 v[44:45], v[44:45], s[48:49]
	v_pk_add_f32 v[108:109], v[154:155], v[108:109]
	v_pk_fma_f32 v[154:155], v[16:17], s[24:25], v[50:51] neg_lo:[1,0,0] neg_hi:[1,0,0]
	v_pk_fma_f32 v[62:63], v[4:5], s[26:27], v[62:63] neg_lo:[0,0,1] neg_hi:[0,0,1]
	v_mov_b32_e32 v155, v161
	v_pk_add_f32 v[108:109], v[154:155], v[108:109]
	v_pk_fma_f32 v[154:155], v[22:23], s[54:55], v[48:49] neg_lo:[1,0,0] neg_hi:[1,0,0]
	v_pk_fma_f32 v[166:167], v[34:35], s[30:31], v[44:45]
	v_mov_b32_e32 v155, v163
	v_pk_add_f32 v[108:109], v[154:155], v[108:109]
	v_pk_fma_f32 v[154:155], v[28:29], s[22:23], v[46:47] neg_lo:[1,0,0] neg_hi:[1,0,0]
	v_mov_b32_e32 v133, v63
	v_mov_b32_e32 v155, v165
	v_pk_add_f32 v[108:109], v[154:155], v[108:109]
	v_pk_fma_f32 v[154:155], v[34:35], s[30:31], v[44:45] neg_lo:[1,0,0] neg_hi:[1,0,0]
	v_pk_fma_f32 v[56:57], v[10:11], s[34:35], v[56:57] neg_lo:[0,0,1] neg_hi:[0,0,1]
	;; [unrolled: 1-line block ×3, first 2 shown]
	v_mov_b32_e32 v155, v167
	v_mov_b32_e32 v159, v57
	v_pk_fma_f32 v[50:51], v[16:17], s[24:25], v[50:51] neg_lo:[0,0,1] neg_hi:[0,0,1]
	v_mov_b32_e32 v167, v45
	v_pk_add_f32 v[44:45], v[2:3], v[132:133]
	v_mov_b32_e32 v161, v51
	v_pk_fma_f32 v[48:49], v[22:23], s[54:55], v[48:49] neg_lo:[0,0,1] neg_hi:[0,0,1]
	v_pk_add_f32 v[44:45], v[158:159], v[44:45]
	v_mov_b32_e32 v163, v49
	v_pk_fma_f32 v[46:47], v[28:29], s[22:23], v[46:47] neg_lo:[0,0,1] neg_hi:[0,0,1]
	v_pk_add_f32 v[44:45], v[160:161], v[44:45]
	v_mov_b32_e32 v165, v47
	v_pk_add_f32 v[44:45], v[162:163], v[44:45]
	v_pk_add_f32 v[108:109], v[154:155], v[108:109]
	;; [unrolled: 1-line block ×3, first 2 shown]
	v_pk_fma_f32 v[46:47], v[4:5], s[22:23], v[106:107] neg_lo:[0,0,1] neg_hi:[0,0,1]
	v_pk_add_f32 v[44:45], v[166:167], v[44:45]
	ds_write2_b64 v104, v[108:109], v[44:45] offset0:6 offset1:7
	v_pk_fma_f32 v[44:45], v[4:5], s[24:25], v[128:129] neg_lo:[0,0,1] neg_hi:[0,0,1]
	v_mov_b32_e32 v101, v47
	v_mov_b32_e32 v135, v45
	v_pk_fma_f32 v[44:45], v[10:11], s[30:31], v[136:137] neg_lo:[0,0,1] neg_hi:[0,0,1]
	v_pk_fma_f32 v[46:47], v[10:11], s[28:29], v[110:111] neg_lo:[0,0,1] neg_hi:[0,0,1]
	v_mov_b32_e32 v141, v45
	v_pk_fma_f32 v[44:45], v[16:17], s[18:19], v[138:139] neg_lo:[0,0,1] neg_hi:[0,0,1]
	v_mov_b32_e32 v115, v47
	;; [unrolled: 2-line block ×9, first 2 shown]
	v_pk_add_f32 v[44:45], v[2:3], v[134:135]
	v_mov_b32_e32 v131, v47
	v_pk_add_f32 v[46:47], v[2:3], v[100:101]
	v_pk_add_f32 v[44:45], v[140:141], v[44:45]
	;; [unrolled: 1-line block ×11, first 2 shown]
	ds_write2_b64 v104, v[44:45], v[46:47] offset0:8 offset1:9
	v_pk_fma_f32 v[44:45], v[4:5], s[20:21], v[80:81] neg_lo:[0,0,1] neg_hi:[0,0,1]
	v_pk_fma_f32 v[46:47], v[4:5], s[18:19], v[52:53] neg_lo:[0,0,1] neg_hi:[0,0,1]
	v_mov_b32_e32 v77, v45
	v_pk_fma_f32 v[44:45], v[10:11], s[26:27], v[82:83] neg_lo:[0,0,1] neg_hi:[0,0,1]
	v_pk_fma_f32 v[4:5], v[4:5], s[16:17], v[8:9] neg_lo:[0,0,1] neg_hi:[0,0,1]
	v_mov_b32_e32 v79, v45
	v_pk_fma_f32 v[44:45], v[16:17], s[44:45], v[90:91] neg_lo:[0,0,1] neg_hi:[0,0,1]
	v_mov_b32_e32 v41, v47
	v_mov_b32_e32 v85, v45
	v_pk_fma_f32 v[44:45], v[22:23], s[34:35], v[94:95] neg_lo:[0,0,1] neg_hi:[0,0,1]
	v_mov_b32_e32 v7, v5
	v_mov_b32_e32 v87, v45
	v_pk_fma_f32 v[44:45], v[28:29], s[18:19], v[96:97] neg_lo:[0,0,1] neg_hi:[0,0,1]
	v_pk_fma_f32 v[4:5], v[10:11], s[18:19], v[14:15] neg_lo:[0,0,1] neg_hi:[0,0,1]
	v_mov_b32_e32 v89, v45
	v_pk_fma_f32 v[44:45], v[34:35], s[24:25], v[98:99] neg_lo:[0,0,1] neg_hi:[0,0,1]
	v_pk_add_f32 v[40:41], v[2:3], v[40:41]
	v_mov_b32_e32 v93, v45
	v_pk_add_f32 v[44:45], v[2:3], v[76:77]
	v_pk_add_f32 v[2:3], v[2:3], v[6:7]
	v_mov_b32_e32 v13, v5
	v_pk_fma_f32 v[4:5], v[16:17], s[20:21], v[20:21] neg_lo:[0,0,1] neg_hi:[0,0,1]
	v_pk_fma_f32 v[46:47], v[10:11], s[22:23], v[54:55] neg_lo:[0,0,1] neg_hi:[0,0,1]
	v_pk_add_f32 v[2:3], v[12:13], v[2:3]
	v_mov_b32_e32 v19, v5
	v_pk_fma_f32 v[4:5], v[22:23], s[22:23], v[26:27] neg_lo:[0,0,1] neg_hi:[0,0,1]
	v_mov_b32_e32 v43, v47
	v_pk_fma_f32 v[46:47], v[16:17], s[26:27], v[64:65] neg_lo:[0,0,1] neg_hi:[0,0,1]
	v_pk_add_f32 v[2:3], v[18:19], v[2:3]
	v_mov_b32_e32 v25, v5
	v_pk_fma_f32 v[4:5], v[28:29], s[24:25], v[32:33] neg_lo:[0,0,1] neg_hi:[0,0,1]
	v_pk_add_f32 v[44:45], v[78:79], v[44:45]
	;; [unrolled: 3-line block ×3, first 2 shown]
	v_pk_add_f32 v[2:3], v[24:25], v[2:3]
	v_mov_b32_e32 v31, v5
	v_pk_fma_f32 v[4:5], v[34:35], s[26:27], v[38:39] neg_lo:[0,0,1] neg_hi:[0,0,1]
	v_pk_add_f32 v[44:45], v[84:85], v[44:45]
	v_mov_b32_e32 v61, v47
	v_pk_fma_f32 v[46:47], v[28:29], s[30:31], v[70:71] neg_lo:[0,0,1] neg_hi:[0,0,1]
	v_pk_add_f32 v[40:41], v[58:59], v[40:41]
	v_pk_add_f32 v[2:3], v[30:31], v[2:3]
	v_mov_b32_e32 v37, v5
	v_pk_add_f32 v[44:45], v[86:87], v[44:45]
	v_mov_b32_e32 v67, v47
	v_pk_fma_f32 v[46:47], v[34:35], s[34:35], v[74:75] neg_lo:[0,0,1] neg_hi:[0,0,1]
	v_pk_add_f32 v[40:41], v[60:61], v[40:41]
	v_pk_add_f32 v[2:3], v[36:37], v[2:3]
	v_pk_add_f32 v[44:45], v[88:89], v[44:45]
	v_mov_b32_e32 v73, v47
	v_pk_add_f32 v[40:41], v[66:67], v[40:41]
	ds_write_b64 v104, v[2:3] offset:96
	v_mul_u32_u24_e32 v2, 12, v103
	v_pk_add_f32 v[44:45], v[92:93], v[44:45]
	v_pk_add_f32 v[40:41], v[72:73], v[40:41]
	v_lshlrev_b32_e32 v2, 3, v2
	ds_write2_b64 v104, v[44:45], v[40:41] offset0:10 offset1:11
	s_waitcnt lgkmcnt(0)
	s_barrier
	global_load_dwordx4 v[4:7], v2, s[4:5]
	global_load_dwordx4 v[8:11], v2, s[4:5] offset:16
	global_load_dwordx4 v[12:15], v2, s[4:5] offset:32
	;; [unrolled: 1-line block ×5, first 2 shown]
	ds_read2_b64 v[28:31], v1 offset0:13 offset1:26
	ds_read_b64 v[2:3], v102
	ds_read_b64 v[32:33], v1 offset:312
	ds_read2_b32 v[40:41], v1 offset0:104 offset1:105
	s_mul_i32 s3, s9, s13
	s_mul_hi_u32 s4, s8, s13
	s_mul_i32 s66, s66, s10
	s_add_i32 s4, s4, s3
	s_mul_i32 s3, s8, s13
	s_add_u32 s3, s3, s66
	s_addc_u32 s5, s4, 0
	s_mul_i32 s4, s15, s33
	s_mul_hi_u32 s10, s14, s33
	s_add_i32 s10, s10, s4
	s_mul_i32 s4, s14, s33
	s_add_u32 s4, s3, s4
	s_mov_b32 s3, 0x15555556
	s_addc_u32 s5, s5, s10
	s_andn2_b64 vcc, exec, s[6:7]
	s_waitcnt vmcnt(5) lgkmcnt(3)
	v_mul_f32_e32 v34, v5, v29
	v_mul_f32_e32 v49, v5, v28
	v_fma_f32 v48, v4, v28, -v34
	v_fmac_f32_e32 v49, v4, v29
	v_mul_f32_e32 v4, v7, v31
	v_fma_f32 v42, v6, v30, -v4
	s_waitcnt vmcnt(4) lgkmcnt(1)
	v_mul_f32_e32 v4, v9, v33
	v_mul_f32_e32 v45, v9, v32
	;; [unrolled: 1-line block ×3, first 2 shown]
	v_fma_f32 v44, v8, v32, -v4
	v_fmac_f32_e32 v45, v8, v33
	s_waitcnt lgkmcnt(0)
	v_mov_b32_e32 v8, v41
	v_mov_b32_e32 v46, v11
	;; [unrolled: 1-line block ×3, first 2 shown]
	v_fmac_f32_e32 v43, v6, v31
	ds_read2_b64 v[4:7], v1 offset0:65 offset1:78
	ds_read2_b64 v[28:31], v1 offset0:91 offset1:104
	;; [unrolled: 1-line block ×4, first 2 shown]
	v_pk_mul_f32 v[8:9], v[8:9], v[46:47] op_sel_hi:[0,1]
	v_pk_fma_f32 v[46:47], v[10:11], v[40:41], v[8:9] neg_lo:[0,0,1] neg_hi:[0,0,1]
	v_pk_fma_f32 v[8:9], v[10:11], v[40:41], v[8:9] op_sel_hi:[1,0,1]
	s_waitcnt lgkmcnt(0)
	v_mov_b32_e32 v47, v9
	s_waitcnt vmcnt(3)
	v_pk_mul_f32 v[8:9], v[4:5], v[12:13] op_sel:[0,1]
	s_barrier
	v_pk_fma_f32 v[10:11], v[4:5], v[12:13], v[8:9] op_sel:[0,0,1] op_sel_hi:[1,1,0] neg_lo:[0,0,1] neg_hi:[0,0,1]
	v_pk_fma_f32 v[4:5], v[4:5], v[12:13], v[8:9] op_sel:[0,0,1] op_sel_hi:[1,0,0]
	s_nop 0
	v_mov_b32_e32 v4, v15
	v_mov_b32_e32 v11, v5
	v_pk_mul_f32 v[4:5], v[6:7], v[4:5] op_sel_hi:[1,0]
	s_nop 0
	v_pk_fma_f32 v[12:13], v[6:7], v[14:15], v[4:5] op_sel:[0,0,1] op_sel_hi:[1,1,0] neg_lo:[0,0,1] neg_hi:[0,0,1]
	v_pk_fma_f32 v[4:5], v[6:7], v[14:15], v[4:5] op_sel:[0,0,1] op_sel_hi:[1,0,0]
	s_nop 0
	v_mov_b32_e32 v13, v5
	s_waitcnt vmcnt(2)
	v_pk_mul_f32 v[4:5], v[28:29], v[16:17] op_sel:[0,1]
	s_nop 0
	v_pk_fma_f32 v[14:15], v[28:29], v[16:17], v[4:5] op_sel:[0,0,1] op_sel_hi:[1,1,0] neg_lo:[0,0,1] neg_hi:[0,0,1]
	v_pk_fma_f32 v[4:5], v[28:29], v[16:17], v[4:5] op_sel:[0,0,1] op_sel_hi:[1,0,0]
	s_nop 0
	v_mov_b32_e32 v4, v19
	v_mov_b32_e32 v15, v5
	v_pk_mul_f32 v[4:5], v[30:31], v[4:5] op_sel_hi:[1,0]
	v_pk_add_f32 v[62:63], v[12:13], v[14:15]
	v_pk_fma_f32 v[16:17], v[30:31], v[18:19], v[4:5] op_sel:[0,0,1] op_sel_hi:[1,1,0] neg_lo:[0,0,1] neg_hi:[0,0,1]
	v_pk_fma_f32 v[4:5], v[30:31], v[18:19], v[4:5] op_sel:[0,0,1] op_sel_hi:[1,0,0]
	s_nop 0
	v_mov_b32_e32 v17, v5
	s_waitcnt vmcnt(1)
	v_pk_mul_f32 v[4:5], v[32:33], v[20:21] op_sel:[0,1]
	v_pk_add_f32 v[64:65], v[10:11], v[16:17]
	v_pk_fma_f32 v[18:19], v[32:33], v[20:21], v[4:5] op_sel:[0,0,1] op_sel_hi:[1,1,0] neg_lo:[0,0,1] neg_hi:[0,0,1]
	v_pk_fma_f32 v[4:5], v[32:33], v[20:21], v[4:5] op_sel:[0,0,1] op_sel_hi:[1,0,0]
	v_pk_add_f32 v[30:31], v[10:11], v[16:17] neg_lo:[0,1] neg_hi:[0,1]
	v_mov_b32_e32 v4, v23
	v_mov_b32_e32 v19, v5
	v_pk_mul_f32 v[4:5], v[34:35], v[4:5] op_sel_hi:[1,0]
	v_pk_add_f32 v[66:67], v[46:47], v[18:19]
	v_pk_fma_f32 v[20:21], v[34:35], v[22:23], v[4:5] op_sel:[0,0,1] op_sel_hi:[1,0,0] neg_lo:[0,0,1] neg_hi:[0,0,1]
	v_pk_fma_f32 v[22:23], v[34:35], v[22:23], v[4:5] op_sel:[0,0,1] op_sel_hi:[1,0,0]
	s_waitcnt vmcnt(0)
	v_pk_mul_f32 v[4:5], v[36:37], v[24:25] op_sel:[0,1]
	v_mov_b32_e32 v21, v23
	v_pk_fma_f32 v[28:29], v[36:37], v[24:25], v[4:5] op_sel:[0,0,1] op_sel_hi:[1,0,0] neg_lo:[0,0,1] neg_hi:[0,0,1]
	v_pk_fma_f32 v[4:5], v[36:37], v[24:25], v[4:5] op_sel:[0,0,1] op_sel_hi:[1,0,0]
	v_add_f32_e32 v22, v48, v2
	v_mov_b32_e32 v4, v27
	v_pk_mul_f32 v[6:7], v[38:39], v[4:5] op_sel_hi:[1,0]
	v_mov_b32_e32 v29, v5
	v_pk_fma_f32 v[24:25], v[38:39], v[26:27], v[6:7] op_sel:[0,0,1] op_sel_hi:[1,0,0] neg_lo:[0,0,1] neg_hi:[0,0,1]
	v_pk_fma_f32 v[6:7], v[38:39], v[26:27], v[6:7] op_sel:[0,0,1] op_sel_hi:[1,0,0]
	v_sub_f32_e32 v4, v45, v23
	v_mov_b32_e32 v25, v7
	v_add_f32_e32 v9, v49, v7
	v_sub_f32_e32 v8, v49, v7
	v_add_f32_e32 v7, v43, v5
	v_sub_f32_e32 v6, v43, v5
	v_add_f32_e32 v5, v45, v23
	v_add_f32_e32 v23, v49, v3
	v_pk_add_f32 v[22:23], v[22:23], v[42:43]
	v_add_f32_e32 v74, v48, v24
	v_pk_add_f32 v[22:23], v[22:23], v[44:45]
	v_sub_f32_e32 v75, v48, v24
	v_pk_add_f32 v[22:23], v[22:23], v[46:47]
	v_pk_add_f32 v[36:37], v[12:13], v[14:15] neg_lo:[0,1] neg_hi:[0,1]
	v_pk_add_f32 v[10:11], v[22:23], v[10:11]
	v_add_f32_e32 v72, v42, v28
	v_pk_add_f32 v[10:11], v[10:11], v[12:13]
	v_pk_mul_f32 v[12:13], v[74:75], s[58:59]
	v_pk_add_f32 v[10:11], v[10:11], v[14:15]
	v_sub_f32_e32 v73, v42, v28
	v_pk_add_f32 v[10:11], v[10:11], v[16:17]
	v_pk_fma_f32 v[14:15], v[8:9], s[16:17], v[12:13] neg_lo:[1,0,0] neg_hi:[1,0,0]
	v_pk_add_f32 v[10:11], v[10:11], v[18:19]
	v_pk_mul_f32 v[16:17], v[72:73], s[40:41]
	v_pk_add_f32 v[10:11], v[10:11], v[20:21]
	v_add_f32_e32 v70, v44, v20
	v_pk_add_f32 v[10:11], v[10:11], v[28:29]
	v_sub_f32_e32 v71, v44, v20
	v_pk_add_f32 v[40:41], v[10:11], v[24:25]
	v_pk_fma_f32 v[10:11], v[8:9], s[16:17], v[12:13]
	v_pk_add_f32 v[26:27], v[46:47], v[18:19] neg_lo:[0,1] neg_hi:[0,1]
	v_mov_b32_e32 v15, v11
	v_pk_add_f32 v[18:19], v[14:15], v[2:3]
	v_pk_fma_f32 v[20:21], v[6:7], s[18:19], v[16:17] neg_lo:[1,0,0] neg_hi:[1,0,0]
	v_pk_fma_f32 v[14:15], v[6:7], s[18:19], v[16:17]
	v_pk_mul_f32 v[48:49], v[72:73], s[36:37]
	v_mov_b32_e32 v21, v15
	v_pk_add_f32 v[22:23], v[20:21], v[18:19]
	v_pk_mul_f32 v[20:21], v[70:71], s[46:47]
	v_pk_fma_f32 v[50:51], v[6:7], s[22:23], v[48:49] neg_lo:[1,0,0] neg_hi:[1,0,0]
	v_pk_fma_f32 v[24:25], v[4:5], s[20:21], v[20:21] neg_lo:[1,0,0] neg_hi:[1,0,0]
	v_pk_fma_f32 v[18:19], v[4:5], s[20:21], v[20:21]
	v_pk_mul_f32 v[68:69], v[70:71], s[42:43]
	v_mov_b32_e32 v25, v19
	v_pk_add_f32 v[28:29], v[24:25], v[22:23]
	v_mov_b32_e32 v23, v67
	v_mov_b32_e32 v67, v26
	v_mov_b32_e32 v22, v27
	v_pk_mul_f32 v[26:27], v[66:67], s[36:37]
	v_pk_fma_f32 v[52:53], v[4:5], s[26:27], v[68:69] neg_lo:[1,0,0] neg_hi:[1,0,0]
	v_pk_fma_f32 v[32:33], v[22:23], s[22:23], v[26:27] neg_lo:[1,0,0] neg_hi:[1,0,0]
	v_pk_fma_f32 v[24:25], v[22:23], s[22:23], v[26:27]
	v_pk_mul_f32 v[56:57], v[66:67], s[56:57]
	v_mov_b32_e32 v33, v25
	v_pk_add_f32 v[34:35], v[32:33], v[28:29]
	v_mov_b32_e32 v29, v65
	v_mov_b32_e32 v65, v30
	v_mov_b32_e32 v28, v31
	;; [unrolled: 10-line block ×3, first 2 shown]
	v_pk_mul_f32 v[38:39], v[62:63], s[42:43]
	v_pk_fma_f32 v[60:61], v[28:29], s[30:31], v[58:59] neg_lo:[1,0,0] neg_hi:[1,0,0]
	v_pk_fma_f32 v[44:45], v[34:35], s[26:27], v[38:39] neg_lo:[1,0,0] neg_hi:[1,0,0]
	v_pk_fma_f32 v[36:37], v[34:35], s[26:27], v[38:39]
	v_pk_mul_f32 v[80:81], v[74:75], s[46:47]
	v_mov_b32_e32 v45, v37
	v_pk_add_f32 v[42:43], v[44:45], v[42:43]
	v_pk_mul_f32 v[44:45], v[74:75], s[40:41]
	ds_write2_b64 v1, v[40:41], v[42:43] offset1:13
	v_pk_fma_f32 v[46:47], v[8:9], s[18:19], v[44:45] neg_lo:[1,0,0] neg_hi:[1,0,0]
	v_pk_fma_f32 v[40:41], v[8:9], s[18:19], v[44:45]
	v_pk_fma_f32 v[42:43], v[6:7], s[22:23], v[48:49]
	v_mov_b32_e32 v47, v41
	v_mov_b32_e32 v51, v43
	v_pk_add_f32 v[46:47], v[46:47], v[2:3]
	v_pk_fma_f32 v[84:85], v[8:9], s[20:21], v[80:81] neg_lo:[1,0,0] neg_hi:[1,0,0]
	v_pk_add_f32 v[50:51], v[50:51], v[46:47]
	v_pk_fma_f32 v[46:47], v[4:5], s[26:27], v[68:69]
	v_pk_mul_f32 v[82:83], v[72:73], s[42:43]
	v_mov_b32_e32 v53, v47
	v_pk_add_f32 v[52:53], v[52:53], v[50:51]
	v_pk_fma_f32 v[50:51], v[22:23], s[28:29], v[56:57]
	v_pk_fma_f32 v[86:87], v[6:7], s[26:27], v[82:83] neg_lo:[1,0,0] neg_hi:[1,0,0]
	v_mov_b32_e32 v55, v51
	v_pk_add_f32 v[54:55], v[54:55], v[52:53]
	v_pk_fma_f32 v[52:53], v[28:29], s[30:31], v[58:59]
	v_pk_mul_f32 v[90:91], v[70:71], s[64:65]
	v_mov_b32_e32 v61, v53
	v_pk_add_f32 v[76:77], v[60:61], v[54:55]
	v_pk_mul_f32 v[60:61], v[62:63], s[50:51]
	v_pk_fma_f32 v[88:89], v[4:5], s[44:45], v[90:91] neg_lo:[1,0,0] neg_hi:[1,0,0]
	v_pk_fma_f32 v[78:79], v[34:35], s[34:35], v[60:61] neg_lo:[1,0,0] neg_hi:[1,0,0]
	v_pk_fma_f32 v[54:55], v[34:35], s[34:35], v[60:61]
	v_pk_mul_f32 v[96:97], v[66:67], s[50:51]
	v_mov_b32_e32 v79, v55
	v_pk_add_f32 v[94:95], v[78:79], v[76:77]
	v_pk_fma_f32 v[76:77], v[8:9], s[20:21], v[80:81]
	v_pk_fma_f32 v[78:79], v[6:7], s[26:27], v[82:83]
	v_mov_b32_e32 v85, v77
	v_mov_b32_e32 v87, v79
	v_pk_add_f32 v[84:85], v[84:85], v[2:3]
	v_pk_fma_f32 v[92:93], v[22:23], s[34:35], v[96:97] neg_lo:[1,0,0] neg_hi:[1,0,0]
	v_pk_add_f32 v[86:87], v[86:87], v[84:85]
	v_pk_fma_f32 v[84:85], v[4:5], s[44:45], v[90:91]
	v_pk_mul_f32 v[98:99], v[64:65], s[40:41]
	v_mov_b32_e32 v89, v85
	v_pk_add_f32 v[88:89], v[88:89], v[86:87]
	v_pk_fma_f32 v[86:87], v[22:23], s[34:35], v[96:97]
	v_pk_fma_f32 v[100:101], v[28:29], s[18:19], v[98:99] neg_lo:[1,0,0] neg_hi:[1,0,0]
	v_mov_b32_e32 v93, v87
	v_pk_add_f32 v[92:93], v[92:93], v[88:89]
	v_pk_fma_f32 v[88:89], v[28:29], s[18:19], v[98:99]
	v_pk_mul_f32 v[102:103], v[62:63], s[38:39]
	v_mov_b32_e32 v101, v89
	v_pk_add_f32 v[100:101], v[100:101], v[92:93]
	v_pk_fma_f32 v[104:105], v[34:35], s[24:25], v[102:103] neg_lo:[1,0,0] neg_hi:[1,0,0]
	v_pk_fma_f32 v[92:93], v[34:35], s[24:25], v[102:103]
	v_pk_mul_f32 v[106:107], v[72:73], s[56:57]
	v_mov_b32_e32 v105, v93
	v_pk_add_f32 v[100:101], v[104:105], v[100:101]
	ds_write2_b64 v1, v[94:95], v[100:101] offset0:26 offset1:39
	v_pk_mul_f32 v[94:95], v[74:75], s[36:37]
	v_pk_fma_f32 v[108:109], v[6:7], s[28:29], v[106:107] neg_lo:[1,0,0] neg_hi:[1,0,0]
	v_pk_fma_f32 v[100:101], v[8:9], s[22:23], v[94:95] neg_lo:[1,0,0] neg_hi:[1,0,0]
	v_pk_fma_f32 v[104:105], v[8:9], s[22:23], v[94:95]
	v_pk_fma_f32 v[110:111], v[6:7], s[28:29], v[106:107]
	v_mov_b32_e32 v101, v105
	v_mov_b32_e32 v109, v111
	v_pk_add_f32 v[100:101], v[100:101], v[2:3]
	v_pk_mul_f32 v[132:133], v[72:73], s[48:49]
	v_pk_add_f32 v[100:101], v[108:109], v[100:101]
	v_pk_mul_f32 v[108:109], v[70:71], s[50:51]
	v_pk_fma_f32 v[134:135], v[6:7], s[30:31], v[132:133] neg_lo:[1,0,0] neg_hi:[1,0,0]
	v_pk_fma_f32 v[112:113], v[4:5], s[34:35], v[108:109] neg_lo:[1,0,0] neg_hi:[1,0,0]
	v_pk_fma_f32 v[114:115], v[4:5], s[34:35], v[108:109]
	v_pk_fma_f32 v[136:137], v[6:7], s[30:31], v[132:133]
	v_mov_b32_e32 v113, v115
	v_pk_add_f32 v[100:101], v[112:113], v[100:101]
	v_pk_mul_f32 v[112:113], v[66:67], s[46:47]
	v_mov_b32_e32 v135, v137
	v_pk_fma_f32 v[116:117], v[22:23], s[20:21], v[112:113] neg_lo:[1,0,0] neg_hi:[1,0,0]
	v_pk_fma_f32 v[118:119], v[22:23], s[20:21], v[112:113]
	v_pk_mul_f32 v[72:73], v[72:73], s[50:51]
	v_mov_b32_e32 v117, v119
	v_pk_add_f32 v[100:101], v[116:117], v[100:101]
	v_pk_mul_f32 v[116:117], v[64:65], s[62:63]
	v_pk_fma_f32 v[154:155], v[6:7], s[34:35], v[72:73]
	v_pk_fma_f32 v[120:121], v[28:29], s[52:53], v[116:117] neg_lo:[1,0,0] neg_hi:[1,0,0]
	v_pk_fma_f32 v[122:123], v[28:29], s[52:53], v[116:117]
	v_pk_fma_f32 v[44:45], v[8:9], s[18:19], v[44:45] neg_lo:[0,0,1] neg_hi:[0,0,1]
	v_mov_b32_e32 v121, v123
	v_pk_add_f32 v[100:101], v[120:121], v[100:101]
	v_pk_mul_f32 v[120:121], v[62:63], s[60:61]
	v_mov_b32_e32 v41, v45
	v_pk_fma_f32 v[124:125], v[34:35], s[54:55], v[120:121] neg_lo:[1,0,0] neg_hi:[1,0,0]
	v_pk_fma_f32 v[126:127], v[34:35], s[54:55], v[120:121]
	v_pk_fma_f32 v[44:45], v[6:7], s[22:23], v[48:49] neg_lo:[0,0,1] neg_hi:[0,0,1]
	v_mov_b32_e32 v125, v127
	v_pk_add_f32 v[100:101], v[124:125], v[100:101]
	v_pk_mul_f32 v[124:125], v[74:75], s[38:39]
	v_pk_mul_f32 v[74:75], v[74:75], s[42:43]
	v_pk_fma_f32 v[128:129], v[8:9], s[24:25], v[124:125] neg_lo:[1,0,0] neg_hi:[1,0,0]
	v_pk_fma_f32 v[130:131], v[8:9], s[24:25], v[124:125]
	v_mov_b32_e32 v43, v45
	v_mov_b32_e32 v129, v131
	v_pk_add_f32 v[128:129], v[128:129], v[2:3]
	v_pk_fma_f32 v[44:45], v[4:5], s[26:27], v[68:69] neg_lo:[0,0,1] neg_hi:[0,0,1]
	v_pk_add_f32 v[128:129], v[134:135], v[128:129]
	v_pk_mul_f32 v[134:135], v[70:71], s[40:41]
	v_pk_mul_f32 v[70:71], v[70:71], s[38:39]
	v_pk_fma_f32 v[138:139], v[4:5], s[18:19], v[134:135] neg_lo:[1,0,0] neg_hi:[1,0,0]
	v_pk_fma_f32 v[140:141], v[4:5], s[18:19], v[134:135]
	v_pk_fma_f32 v[156:157], v[4:5], s[24:25], v[70:71]
	v_mov_b32_e32 v139, v141
	v_pk_add_f32 v[128:129], v[138:139], v[128:129]
	v_pk_mul_f32 v[138:139], v[66:67], s[62:63]
	v_pk_mul_f32 v[66:67], v[66:67], s[60:61]
	v_pk_fma_f32 v[142:143], v[22:23], s[52:53], v[138:139] neg_lo:[1,0,0] neg_hi:[1,0,0]
	v_pk_fma_f32 v[144:145], v[22:23], s[52:53], v[138:139]
	v_pk_fma_f32 v[158:159], v[22:23], s[54:55], v[66:67]
	v_mov_b32_e32 v143, v145
	;; [unrolled: 7-line block ×4, first 2 shown]
	v_pk_add_f32 v[128:129], v[150:151], v[128:129]
	ds_write2_b64 v1, v[100:101], v[128:129] offset0:52 offset1:65
	v_pk_fma_f32 v[100:101], v[8:9], s[26:27], v[74:75] neg_lo:[1,0,0] neg_hi:[1,0,0]
	v_pk_fma_f32 v[128:129], v[8:9], s[26:27], v[74:75]
	v_pk_fma_f32 v[150:151], v[6:7], s[34:35], v[72:73] neg_lo:[1,0,0] neg_hi:[1,0,0]
	v_mov_b32_e32 v101, v129
	v_mov_b32_e32 v151, v155
	v_pk_add_f32 v[100:101], v[100:101], v[2:3]
	v_pk_fma_f32 v[74:75], v[8:9], s[26:27], v[74:75] neg_lo:[0,0,1] neg_hi:[0,0,1]
	v_pk_add_f32 v[100:101], v[150:151], v[100:101]
	v_pk_fma_f32 v[150:151], v[4:5], s[24:25], v[70:71] neg_lo:[1,0,0] neg_hi:[1,0,0]
	v_mov_b32_e32 v129, v75
	v_mov_b32_e32 v151, v157
	v_pk_add_f32 v[100:101], v[150:151], v[100:101]
	v_pk_fma_f32 v[150:151], v[22:23], s[54:55], v[66:67] neg_lo:[1,0,0] neg_hi:[1,0,0]
	v_pk_fma_f32 v[72:73], v[6:7], s[34:35], v[72:73] neg_lo:[0,0,1] neg_hi:[0,0,1]
	v_mov_b32_e32 v151, v159
	v_pk_add_f32 v[100:101], v[150:151], v[100:101]
	v_pk_fma_f32 v[150:151], v[28:29], s[22:23], v[64:65] neg_lo:[1,0,0] neg_hi:[1,0,0]
	v_mov_b32_e32 v155, v73
	v_mov_b32_e32 v151, v161
	v_pk_add_f32 v[100:101], v[150:151], v[100:101]
	v_pk_fma_f32 v[150:151], v[34:35], s[30:31], v[62:63] neg_lo:[1,0,0] neg_hi:[1,0,0]
	v_pk_fma_f32 v[62:63], v[34:35], s[30:31], v[62:63] neg_lo:[0,0,1] neg_hi:[0,0,1]
	v_mov_b32_e32 v151, v163
	v_pk_fma_f32 v[70:71], v[4:5], s[24:25], v[70:71] neg_lo:[0,0,1] neg_hi:[0,0,1]
	v_mov_b32_e32 v163, v63
	v_pk_add_f32 v[62:63], v[128:129], v[2:3]
	v_mov_b32_e32 v157, v71
	v_pk_fma_f32 v[66:67], v[22:23], s[54:55], v[66:67] neg_lo:[0,0,1] neg_hi:[0,0,1]
	v_pk_add_f32 v[62:63], v[154:155], v[62:63]
	v_mov_b32_e32 v159, v67
	v_pk_fma_f32 v[64:65], v[28:29], s[22:23], v[64:65] neg_lo:[0,0,1] neg_hi:[0,0,1]
	v_pk_add_f32 v[62:63], v[156:157], v[62:63]
	v_mov_b32_e32 v161, v65
	v_pk_add_f32 v[62:63], v[158:159], v[62:63]
	v_pk_add_f32 v[100:101], v[150:151], v[100:101]
	;; [unrolled: 1-line block ×3, first 2 shown]
	v_pk_fma_f32 v[64:65], v[8:9], s[22:23], v[94:95] neg_lo:[0,0,1] neg_hi:[0,0,1]
	v_pk_add_f32 v[62:63], v[162:163], v[62:63]
	ds_write2_b64 v1, v[100:101], v[62:63] offset0:78 offset1:91
	v_pk_fma_f32 v[62:63], v[8:9], s[24:25], v[124:125] neg_lo:[0,0,1] neg_hi:[0,0,1]
	v_mov_b32_e32 v105, v65
	v_mov_b32_e32 v131, v63
	v_pk_fma_f32 v[62:63], v[6:7], s[30:31], v[132:133] neg_lo:[0,0,1] neg_hi:[0,0,1]
	v_pk_fma_f32 v[64:65], v[6:7], s[28:29], v[106:107] neg_lo:[0,0,1] neg_hi:[0,0,1]
	v_mov_b32_e32 v137, v63
	v_pk_fma_f32 v[62:63], v[4:5], s[18:19], v[134:135] neg_lo:[0,0,1] neg_hi:[0,0,1]
	v_mov_b32_e32 v111, v65
	;; [unrolled: 2-line block ×9, first 2 shown]
	v_pk_add_f32 v[62:63], v[130:131], v[2:3]
	v_mov_b32_e32 v127, v65
	v_pk_add_f32 v[64:65], v[104:105], v[2:3]
	v_pk_add_f32 v[62:63], v[136:137], v[62:63]
	;; [unrolled: 1-line block ×11, first 2 shown]
	ds_write2_b64 v1, v[62:63], v[64:65] offset0:104 offset1:117
	v_pk_fma_f32 v[62:63], v[8:9], s[20:21], v[80:81] neg_lo:[0,0,1] neg_hi:[0,0,1]
	v_pk_fma_f32 v[8:9], v[8:9], s[16:17], v[12:13] neg_lo:[0,0,1] neg_hi:[0,0,1]
	v_mov_b32_e32 v77, v63
	v_pk_fma_f32 v[62:63], v[6:7], s[26:27], v[82:83] neg_lo:[0,0,1] neg_hi:[0,0,1]
	v_mov_b32_e32 v11, v9
	v_mov_b32_e32 v79, v63
	v_pk_fma_f32 v[62:63], v[4:5], s[44:45], v[90:91] neg_lo:[0,0,1] neg_hi:[0,0,1]
	v_pk_fma_f32 v[6:7], v[6:7], s[18:19], v[16:17] neg_lo:[0,0,1] neg_hi:[0,0,1]
	v_mov_b32_e32 v85, v63
	v_pk_fma_f32 v[62:63], v[22:23], s[34:35], v[96:97] neg_lo:[0,0,1] neg_hi:[0,0,1]
	v_pk_add_f32 v[40:41], v[40:41], v[2:3]
	v_mov_b32_e32 v87, v63
	v_pk_fma_f32 v[62:63], v[28:29], s[18:19], v[98:99] neg_lo:[0,0,1] neg_hi:[0,0,1]
	v_mov_b32_e32 v15, v7
	v_mov_b32_e32 v89, v63
	v_pk_fma_f32 v[62:63], v[34:35], s[24:25], v[102:103] neg_lo:[0,0,1] neg_hi:[0,0,1]
	v_pk_fma_f32 v[4:5], v[4:5], s[20:21], v[20:21] neg_lo:[0,0,1] neg_hi:[0,0,1]
	v_mov_b32_e32 v93, v63
	v_pk_add_f32 v[62:63], v[76:77], v[2:3]
	v_pk_add_f32 v[2:3], v[10:11], v[2:3]
	;; [unrolled: 1-line block ×3, first 2 shown]
	v_mov_b32_e32 v47, v45
	v_pk_fma_f32 v[44:45], v[22:23], s[28:29], v[56:57] neg_lo:[0,0,1] neg_hi:[0,0,1]
	v_pk_add_f32 v[40:41], v[42:43], v[40:41]
	v_pk_add_f32 v[2:3], v[14:15], v[2:3]
	v_mov_b32_e32 v19, v5
	v_pk_fma_f32 v[4:5], v[22:23], s[22:23], v[26:27] neg_lo:[0,0,1] neg_hi:[0,0,1]
	v_pk_add_f32 v[62:63], v[84:85], v[62:63]
	v_mov_b32_e32 v51, v45
	v_pk_fma_f32 v[44:45], v[28:29], s[30:31], v[58:59] neg_lo:[0,0,1] neg_hi:[0,0,1]
	v_pk_add_f32 v[40:41], v[46:47], v[40:41]
	v_pk_add_f32 v[2:3], v[18:19], v[2:3]
	v_mov_b32_e32 v25, v5
	v_pk_fma_f32 v[4:5], v[28:29], s[24:25], v[32:33] neg_lo:[0,0,1] neg_hi:[0,0,1]
	v_pk_add_f32 v[62:63], v[86:87], v[62:63]
	;; [unrolled: 7-line block ×3, first 2 shown]
	v_mov_b32_e32 v55, v45
	v_pk_add_f32 v[40:41], v[52:53], v[40:41]
	v_pk_add_f32 v[2:3], v[30:31], v[2:3]
	v_mov_b32_e32 v37, v5
	v_pk_add_f32 v[62:63], v[92:93], v[62:63]
	v_pk_add_f32 v[40:41], v[54:55], v[40:41]
	v_pk_add_f32 v[2:3], v[36:37], v[2:3]
	ds_write2_b64 v1, v[62:63], v[40:41] offset0:130 offset1:143
	ds_write_b64 v1, v[2:3] offset:1248
	v_mul_hi_u32 v1, v0, s3
	v_mul_u32_u24_e32 v2, 12, v1
	v_sub_u32_e32 v10, v0, v2
	s_waitcnt lgkmcnt(0)
	s_barrier
	s_cbranch_vccnz .LBB0_10
; %bb.7:
	v_mad_u64_u32 v[4:5], s[6:7], s8, v10, 0
	v_mov_b32_e32 v2, v5
	v_mul_i32_i24_e32 v6, 0x550, v10
	v_lshlrev_b32_e32 v7, 3, v1
	v_mad_u64_u32 v[2:3], s[6:7], s9, v10, v[2:3]
	v_add3_u32 v6, 0, v6, v7
	s_lshl_b64 s[6:7], s[4:5], 3
	ds_read2_b64 v[12:15], v6 offset1:13
	s_add_u32 s6, s0, s6
	v_mov_b32_e32 v5, v2
	s_addc_u32 s7, s1, s7
	ds_read2_b64 v[16:19], v6 offset0:26 offset1:39
	v_mul_lo_u32 v2, v1, s2
	v_mov_b32_e32 v3, 0
	v_lshl_add_u64 v[4:5], v[4:5], 3, s[6:7]
	s_mul_i32 s3, s2, 13
	v_lshl_add_u64 v[8:9], v[2:3], 3, v[4:5]
	v_add_u32_e32 v2, s3, v2
	s_waitcnt lgkmcnt(1)
	global_store_dwordx2 v[8:9], v[12:13], off
	v_lshl_add_u64 v[8:9], v[2:3], 3, v[4:5]
	v_add_u32_e32 v2, s3, v2
	global_store_dwordx2 v[8:9], v[14:15], off
	v_lshl_add_u64 v[8:9], v[2:3], 3, v[4:5]
	v_add_u32_e32 v2, s3, v2
	ds_read2_b64 v[12:15], v6 offset0:52 offset1:65
	s_waitcnt lgkmcnt(1)
	global_store_dwordx2 v[8:9], v[16:17], off
	v_lshl_add_u64 v[8:9], v[2:3], 3, v[4:5]
	global_store_dwordx2 v[8:9], v[18:19], off
	ds_read2_b64 v[16:19], v6 offset0:78 offset1:91
	v_add_u32_e32 v2, s3, v2
	v_lshl_add_u64 v[8:9], v[2:3], 3, v[4:5]
	v_add_u32_e32 v2, s3, v2
	s_waitcnt lgkmcnt(1)
	global_store_dwordx2 v[8:9], v[12:13], off
	v_lshl_add_u64 v[8:9], v[2:3], 3, v[4:5]
	v_add_u32_e32 v2, s3, v2
	global_store_dwordx2 v[8:9], v[14:15], off
	v_lshl_add_u64 v[8:9], v[2:3], 3, v[4:5]
	v_add_u32_e32 v2, s3, v2
	ds_read2_b64 v[12:15], v6 offset0:104 offset1:117
	s_waitcnt lgkmcnt(1)
	global_store_dwordx2 v[8:9], v[16:17], off
	v_lshl_add_u64 v[8:9], v[2:3], 3, v[4:5]
	global_store_dwordx2 v[8:9], v[18:19], off
	ds_read2_b64 v[16:19], v6 offset0:130 offset1:143
	v_add_u32_e32 v2, s3, v2
	v_lshl_add_u64 v[8:9], v[2:3], 3, v[4:5]
	v_add_u32_e32 v2, s3, v2
	s_waitcnt lgkmcnt(1)
	global_store_dwordx2 v[8:9], v[12:13], off
	v_lshl_add_u64 v[8:9], v[2:3], 3, v[4:5]
	v_add_u32_e32 v2, s3, v2
	global_store_dwordx2 v[8:9], v[14:15], off
	v_lshl_add_u64 v[8:9], v[2:3], 3, v[4:5]
	s_waitcnt lgkmcnt(0)
	global_store_dwordx2 v[8:9], v[16:17], off
	ds_read_b64 v[8:9], v6 offset:1248
	v_add_u32_e32 v2, s3, v2
	v_lshl_add_u64 v[12:13], v[2:3], 3, v[4:5]
	v_add_u32_e32 v2, s3, v2
	global_store_dwordx2 v[12:13], v[18:19], off
	v_lshl_add_u64 v[12:13], v[2:3], 3, v[4:5]
	v_cmp_gt_u32_e32 vcc, 12, v0
	s_mov_b64 s[10:11], 0
	s_mov_b64 s[6:7], 0
	s_waitcnt lgkmcnt(0)
	global_store_dwordx2 v[12:13], v[8:9], off
                                        ; implicit-def: $vgpr7
                                        ; implicit-def: $vgpr8_vgpr9
	s_and_saveexec_b64 s[14:15], vcc
	s_cbranch_execz .LBB0_9
; %bb.8:
	ds_read_b64 v[6:7], v6 offset:1352
	v_add_u32_e32 v2, s3, v2
	s_mov_b64 s[6:7], exec
	v_lshl_add_u64 v[8:9], v[2:3], 3, v[4:5]
	s_waitcnt lgkmcnt(0)
	global_store_dword v[8:9], v6, off
.LBB0_9:
	s_or_b64 exec, exec, s[14:15]
	s_and_b64 vcc, exec, s[10:11]
	s_cbranch_vccnz .LBB0_11
	s_branch .LBB0_16
.LBB0_10:
	s_mov_b64 s[6:7], 0
                                        ; implicit-def: $vgpr7
                                        ; implicit-def: $vgpr8_vgpr9
	s_cbranch_execz .LBB0_16
.LBB0_11:
	v_add_u32_e32 v2, s13, v10
	v_cmp_gt_u32_e32 vcc, s12, v2
                                        ; implicit-def: $vgpr7
                                        ; implicit-def: $vgpr8_vgpr9
	s_and_saveexec_b64 s[10:11], vcc
	s_cbranch_execz .LBB0_15
; %bb.12:
	v_mad_u64_u32 v[4:5], s[14:15], s8, v10, 0
	v_mov_b32_e32 v2, v5
	s_movk_i32 s3, 0x550
	v_mad_u64_u32 v[2:3], s[8:9], s9, v10, v[2:3]
	v_mad_i32_i24 v6, v10, s3, 0
	v_mov_b32_e32 v5, v2
	v_mul_lo_u32 v2, v1, s2
	v_lshl_add_u32 v1, v1, 3, v6
	s_lshl_b64 s[4:5], s[4:5], 3
	ds_read2_b64 v[8:11], v1 offset1:13
	s_add_u32 s0, s0, s4
	s_addc_u32 s1, s1, s5
	v_mov_b32_e32 v3, 0
	v_lshl_add_u64 v[4:5], v[4:5], 3, s[0:1]
	v_lshl_add_u64 v[12:13], v[2:3], 3, v[4:5]
	s_waitcnt lgkmcnt(0)
	global_store_dwordx2 v[12:13], v[8:9], off
	ds_read2_b64 v[12:15], v1 offset0:26 offset1:39
	s_mul_i32 s4, s2, 13
	v_add_u32_e32 v2, s4, v2
	v_lshl_add_u64 v[8:9], v[2:3], 3, v[4:5]
	v_add_u32_e32 v2, s4, v2
	global_store_dwordx2 v[8:9], v[10:11], off
	v_lshl_add_u64 v[8:9], v[2:3], 3, v[4:5]
	s_waitcnt lgkmcnt(0)
	global_store_dwordx2 v[8:9], v[12:13], off
	ds_read2_b64 v[8:11], v1 offset0:52 offset1:65
	v_add_u32_e32 v2, s4, v2
	v_lshl_add_u64 v[12:13], v[2:3], 3, v[4:5]
	v_add_u32_e32 v2, s4, v2
	global_store_dwordx2 v[12:13], v[14:15], off
	v_lshl_add_u64 v[12:13], v[2:3], 3, v[4:5]
	s_waitcnt lgkmcnt(0)
	global_store_dwordx2 v[12:13], v[8:9], off
	ds_read2_b64 v[12:15], v1 offset0:78 offset1:91
	v_add_u32_e32 v2, s4, v2
	v_lshl_add_u64 v[8:9], v[2:3], 3, v[4:5]
	v_add_u32_e32 v2, s4, v2
	global_store_dwordx2 v[8:9], v[10:11], off
	v_lshl_add_u64 v[8:9], v[2:3], 3, v[4:5]
	s_waitcnt lgkmcnt(0)
	global_store_dwordx2 v[8:9], v[12:13], off
	ds_read2_b64 v[8:11], v1 offset0:104 offset1:117
	v_add_u32_e32 v2, s4, v2
	v_lshl_add_u64 v[12:13], v[2:3], 3, v[4:5]
	v_add_u32_e32 v2, s4, v2
	global_store_dwordx2 v[12:13], v[14:15], off
	v_lshl_add_u64 v[12:13], v[2:3], 3, v[4:5]
	s_waitcnt lgkmcnt(0)
	global_store_dwordx2 v[12:13], v[8:9], off
	ds_read2_b64 v[12:15], v1 offset0:130 offset1:143
	v_add_u32_e32 v2, s4, v2
	v_lshl_add_u64 v[8:9], v[2:3], 3, v[4:5]
	v_add_u32_e32 v2, s4, v2
	global_store_dwordx2 v[8:9], v[10:11], off
	v_lshl_add_u64 v[8:9], v[2:3], 3, v[4:5]
	s_waitcnt lgkmcnt(0)
	global_store_dwordx2 v[8:9], v[12:13], off
	ds_read_b64 v[8:9], v1 offset:1248
	s_mul_hi_u32 s0, s12, 0xaaaaaaab
	s_lshr_b32 s0, s0, 3
	v_add_u32_e32 v2, s4, v2
	s_mul_i32 s0, s0, 12
	v_lshl_add_u64 v[10:11], v[2:3], 3, v[4:5]
	v_add_u32_e32 v2, s4, v2
	s_sub_i32 s0, s12, s0
	global_store_dwordx2 v[10:11], v[14:15], off
	v_lshl_add_u64 v[10:11], v[2:3], 3, v[4:5]
	v_cmp_gt_u32_e32 vcc, s0, v0
	s_mov_b64 s[2:3], s[6:7]
	s_waitcnt lgkmcnt(0)
	global_store_dwordx2 v[10:11], v[8:9], off
                                        ; implicit-def: $vgpr7
                                        ; implicit-def: $vgpr8_vgpr9
	s_and_saveexec_b64 s[0:1], vcc
	s_cbranch_execz .LBB0_14
; %bb.13:
	ds_read_b64 v[6:7], v6 offset:1352
	v_add_u32_e32 v2, s4, v2
	v_lshl_add_u64 v[8:9], v[2:3], 3, v[4:5]
	s_or_b64 s[2:3], s[6:7], exec
	s_waitcnt lgkmcnt(0)
	global_store_dword v[8:9], v6, off
.LBB0_14:
	s_or_b64 exec, exec, s[0:1]
	s_andn2_b64 s[0:1], s[6:7], exec
	s_and_b64 s[2:3], s[2:3], exec
	s_or_b64 s[6:7], s[0:1], s[2:3]
.LBB0_15:
	s_or_b64 exec, exec, s[10:11]
.LBB0_16:
	s_and_saveexec_b64 s[0:1], s[6:7]
	s_cbranch_execnz .LBB0_18
; %bb.17:
	s_endpgm
.LBB0_18:
	global_store_dword v[8:9], v7, off offset:4
	s_endpgm
	.section	.rodata,"a",@progbits
	.p2align	6, 0x0
	.amdhsa_kernel fft_rtc_fwd_len169_factors_13_13_wgs_156_tpt_13_sp_op_CI_CI_sbrc_erc_z_xy_unaligned
		.amdhsa_group_segment_fixed_size 0
		.amdhsa_private_segment_fixed_size 0
		.amdhsa_kernarg_size 104
		.amdhsa_user_sgpr_count 2
		.amdhsa_user_sgpr_dispatch_ptr 0
		.amdhsa_user_sgpr_queue_ptr 0
		.amdhsa_user_sgpr_kernarg_segment_ptr 1
		.amdhsa_user_sgpr_dispatch_id 0
		.amdhsa_user_sgpr_kernarg_preload_length 0
		.amdhsa_user_sgpr_kernarg_preload_offset 0
		.amdhsa_user_sgpr_private_segment_size 0
		.amdhsa_uses_dynamic_stack 0
		.amdhsa_enable_private_segment 0
		.amdhsa_system_sgpr_workgroup_id_x 1
		.amdhsa_system_sgpr_workgroup_id_y 0
		.amdhsa_system_sgpr_workgroup_id_z 0
		.amdhsa_system_sgpr_workgroup_info 0
		.amdhsa_system_vgpr_workitem_id 0
		.amdhsa_next_free_vgpr 168
		.amdhsa_next_free_sgpr 67
		.amdhsa_accum_offset 168
		.amdhsa_reserve_vcc 1
		.amdhsa_float_round_mode_32 0
		.amdhsa_float_round_mode_16_64 0
		.amdhsa_float_denorm_mode_32 3
		.amdhsa_float_denorm_mode_16_64 3
		.amdhsa_dx10_clamp 1
		.amdhsa_ieee_mode 1
		.amdhsa_fp16_overflow 0
		.amdhsa_tg_split 0
		.amdhsa_exception_fp_ieee_invalid_op 0
		.amdhsa_exception_fp_denorm_src 0
		.amdhsa_exception_fp_ieee_div_zero 0
		.amdhsa_exception_fp_ieee_overflow 0
		.amdhsa_exception_fp_ieee_underflow 0
		.amdhsa_exception_fp_ieee_inexact 0
		.amdhsa_exception_int_div_zero 0
	.end_amdhsa_kernel
	.text
.Lfunc_end0:
	.size	fft_rtc_fwd_len169_factors_13_13_wgs_156_tpt_13_sp_op_CI_CI_sbrc_erc_z_xy_unaligned, .Lfunc_end0-fft_rtc_fwd_len169_factors_13_13_wgs_156_tpt_13_sp_op_CI_CI_sbrc_erc_z_xy_unaligned
                                        ; -- End function
	.section	.AMDGPU.csdata,"",@progbits
; Kernel info:
; codeLenInByte = 9020
; NumSgprs: 73
; NumVgprs: 168
; NumAgprs: 0
; TotalNumVgprs: 168
; ScratchSize: 0
; MemoryBound: 0
; FloatMode: 240
; IeeeMode: 1
; LDSByteSize: 0 bytes/workgroup (compile time only)
; SGPRBlocks: 9
; VGPRBlocks: 20
; NumSGPRsForWavesPerEU: 73
; NumVGPRsForWavesPerEU: 168
; AccumOffset: 168
; Occupancy: 3
; WaveLimiterHint : 1
; COMPUTE_PGM_RSRC2:SCRATCH_EN: 0
; COMPUTE_PGM_RSRC2:USER_SGPR: 2
; COMPUTE_PGM_RSRC2:TRAP_HANDLER: 0
; COMPUTE_PGM_RSRC2:TGID_X_EN: 1
; COMPUTE_PGM_RSRC2:TGID_Y_EN: 0
; COMPUTE_PGM_RSRC2:TGID_Z_EN: 0
; COMPUTE_PGM_RSRC2:TIDIG_COMP_CNT: 0
; COMPUTE_PGM_RSRC3_GFX90A:ACCUM_OFFSET: 41
; COMPUTE_PGM_RSRC3_GFX90A:TG_SPLIT: 0
	.text
	.p2alignl 6, 3212836864
	.fill 256, 4, 3212836864
	.type	__hip_cuid_c9e1c471fb5b6ff7,@object ; @__hip_cuid_c9e1c471fb5b6ff7
	.section	.bss,"aw",@nobits
	.globl	__hip_cuid_c9e1c471fb5b6ff7
__hip_cuid_c9e1c471fb5b6ff7:
	.byte	0                               ; 0x0
	.size	__hip_cuid_c9e1c471fb5b6ff7, 1

	.ident	"AMD clang version 19.0.0git (https://github.com/RadeonOpenCompute/llvm-project roc-6.4.0 25133 c7fe45cf4b819c5991fe208aaa96edf142730f1d)"
	.section	".note.GNU-stack","",@progbits
	.addrsig
	.addrsig_sym __hip_cuid_c9e1c471fb5b6ff7
	.amdgpu_metadata
---
amdhsa.kernels:
  - .agpr_count:     0
    .args:
      - .actual_access:  read_only
        .address_space:  global
        .offset:         0
        .size:           8
        .value_kind:     global_buffer
      - .offset:         8
        .size:           8
        .value_kind:     by_value
      - .actual_access:  read_only
        .address_space:  global
        .offset:         16
        .size:           8
        .value_kind:     global_buffer
      - .actual_access:  read_only
        .address_space:  global
        .offset:         24
        .size:           8
        .value_kind:     global_buffer
      - .actual_access:  read_only
        .address_space:  global
        .offset:         32
        .size:           8
        .value_kind:     global_buffer
      - .offset:         40
        .size:           8
        .value_kind:     by_value
      - .actual_access:  read_only
        .address_space:  global
        .offset:         48
        .size:           8
        .value_kind:     global_buffer
      - .actual_access:  read_only
        .address_space:  global
        .offset:         56
        .size:           8
        .value_kind:     global_buffer
      - .offset:         64
        .size:           4
        .value_kind:     by_value
      - .actual_access:  read_only
        .address_space:  global
        .offset:         72
        .size:           8
        .value_kind:     global_buffer
      - .actual_access:  read_only
        .address_space:  global
        .offset:         80
        .size:           8
        .value_kind:     global_buffer
      - .actual_access:  read_only
        .address_space:  global
        .offset:         88
        .size:           8
        .value_kind:     global_buffer
      - .actual_access:  write_only
        .address_space:  global
        .offset:         96
        .size:           8
        .value_kind:     global_buffer
    .group_segment_fixed_size: 0
    .kernarg_segment_align: 8
    .kernarg_segment_size: 104
    .language:       OpenCL C
    .language_version:
      - 2
      - 0
    .max_flat_workgroup_size: 156
    .name:           fft_rtc_fwd_len169_factors_13_13_wgs_156_tpt_13_sp_op_CI_CI_sbrc_erc_z_xy_unaligned
    .private_segment_fixed_size: 0
    .sgpr_count:     73
    .sgpr_spill_count: 0
    .symbol:         fft_rtc_fwd_len169_factors_13_13_wgs_156_tpt_13_sp_op_CI_CI_sbrc_erc_z_xy_unaligned.kd
    .uniform_work_group_size: 1
    .uses_dynamic_stack: false
    .vgpr_count:     168
    .vgpr_spill_count: 0
    .wavefront_size: 64
amdhsa.target:   amdgcn-amd-amdhsa--gfx950
amdhsa.version:
  - 1
  - 2
...

	.end_amdgpu_metadata
